;; amdgpu-corpus repo=ROCm/rocFFT kind=compiled arch=gfx906 opt=O3
	.text
	.amdgcn_target "amdgcn-amd-amdhsa--gfx906"
	.amdhsa_code_object_version 6
	.protected	fft_rtc_back_len68_factors_17_4_wgs_255_tpt_17_halfLds_half_op_CI_CI_unitstride_sbrr_C2R_dirReg ; -- Begin function fft_rtc_back_len68_factors_17_4_wgs_255_tpt_17_halfLds_half_op_CI_CI_unitstride_sbrr_C2R_dirReg
	.globl	fft_rtc_back_len68_factors_17_4_wgs_255_tpt_17_halfLds_half_op_CI_CI_unitstride_sbrr_C2R_dirReg
	.p2align	8
	.type	fft_rtc_back_len68_factors_17_4_wgs_255_tpt_17_halfLds_half_op_CI_CI_unitstride_sbrr_C2R_dirReg,@function
fft_rtc_back_len68_factors_17_4_wgs_255_tpt_17_halfLds_half_op_CI_CI_unitstride_sbrr_C2R_dirReg: ; @fft_rtc_back_len68_factors_17_4_wgs_255_tpt_17_halfLds_half_op_CI_CI_unitstride_sbrr_C2R_dirReg
; %bb.0:
	v_mul_u32_u24_e32 v1, 0xf10, v0
	s_load_dwordx4 s[8:11], s[4:5], 0x58
	s_load_dwordx4 s[12:15], s[4:5], 0x0
	;; [unrolled: 1-line block ×3, first 2 shown]
	v_lshrrev_b32_e32 v1, 16, v1
	v_mad_u64_u32 v[8:9], s[0:1], s6, 15, v[1:2]
	v_mov_b32_e32 v10, 0
	s_waitcnt lgkmcnt(0)
	v_cmp_lt_u64_e64 s[0:1], s[14:15], 2
	v_mov_b32_e32 v6, 0
	v_mov_b32_e32 v9, v10
	;; [unrolled: 1-line block ×5, first 2 shown]
	s_and_b64 vcc, exec, s[0:1]
	v_mov_b32_e32 v2, v7
	v_mov_b32_e32 v4, v9
	s_cbranch_vccnz .LBB0_8
; %bb.1:
	s_load_dwordx2 s[0:1], s[4:5], 0x10
	s_add_u32 s2, s18, 8
	s_addc_u32 s3, s19, 0
	s_add_u32 s6, s16, 8
	s_addc_u32 s7, s17, 0
	v_mov_b32_e32 v6, 0
	s_waitcnt lgkmcnt(0)
	s_add_u32 s20, s0, 8
	v_mov_b32_e32 v7, 0
	v_mov_b32_e32 v1, v6
	;; [unrolled: 1-line block ×3, first 2 shown]
	s_addc_u32 s21, s1, 0
	s_mov_b64 s[22:23], 1
	v_mov_b32_e32 v2, v7
	v_mov_b32_e32 v12, v8
.LBB0_2:                                ; =>This Inner Loop Header: Depth=1
	s_load_dwordx2 s[24:25], s[20:21], 0x0
                                        ; implicit-def: $vgpr3_vgpr4
	s_waitcnt lgkmcnt(0)
	v_or_b32_e32 v11, s25, v13
	v_cmp_ne_u64_e32 vcc, 0, v[10:11]
	s_and_saveexec_b64 s[0:1], vcc
	s_xor_b64 s[26:27], exec, s[0:1]
	s_cbranch_execz .LBB0_4
; %bb.3:                                ;   in Loop: Header=BB0_2 Depth=1
	v_cvt_f32_u32_e32 v3, s24
	v_cvt_f32_u32_e32 v4, s25
	s_sub_u32 s0, 0, s24
	s_subb_u32 s1, 0, s25
	v_mac_f32_e32 v3, 0x4f800000, v4
	v_rcp_f32_e32 v3, v3
	v_mul_f32_e32 v3, 0x5f7ffffc, v3
	v_mul_f32_e32 v4, 0x2f800000, v3
	v_trunc_f32_e32 v4, v4
	v_mac_f32_e32 v3, 0xcf800000, v4
	v_cvt_u32_f32_e32 v4, v4
	v_cvt_u32_f32_e32 v3, v3
	v_mul_lo_u32 v5, s0, v4
	v_mul_hi_u32 v9, s0, v3
	v_mul_lo_u32 v14, s1, v3
	v_mul_lo_u32 v11, s0, v3
	v_add_u32_e32 v5, v9, v5
	v_add_u32_e32 v5, v5, v14
	v_mul_hi_u32 v9, v3, v11
	v_mul_lo_u32 v14, v3, v5
	v_mul_hi_u32 v16, v3, v5
	v_mul_hi_u32 v15, v4, v11
	v_mul_lo_u32 v11, v4, v11
	v_mul_hi_u32 v17, v4, v5
	v_add_co_u32_e32 v9, vcc, v9, v14
	v_addc_co_u32_e32 v14, vcc, 0, v16, vcc
	v_mul_lo_u32 v5, v4, v5
	v_add_co_u32_e32 v9, vcc, v9, v11
	v_addc_co_u32_e32 v9, vcc, v14, v15, vcc
	v_addc_co_u32_e32 v11, vcc, 0, v17, vcc
	v_add_co_u32_e32 v5, vcc, v9, v5
	v_addc_co_u32_e32 v9, vcc, 0, v11, vcc
	v_add_co_u32_e32 v3, vcc, v3, v5
	v_addc_co_u32_e32 v4, vcc, v4, v9, vcc
	v_mul_lo_u32 v5, s0, v4
	v_mul_hi_u32 v9, s0, v3
	v_mul_lo_u32 v11, s1, v3
	v_mul_lo_u32 v14, s0, v3
	v_add_u32_e32 v5, v9, v5
	v_add_u32_e32 v5, v5, v11
	v_mul_lo_u32 v15, v3, v5
	v_mul_hi_u32 v16, v3, v14
	v_mul_hi_u32 v17, v3, v5
	;; [unrolled: 1-line block ×3, first 2 shown]
	v_mul_lo_u32 v14, v4, v14
	v_mul_hi_u32 v9, v4, v5
	v_add_co_u32_e32 v15, vcc, v16, v15
	v_addc_co_u32_e32 v16, vcc, 0, v17, vcc
	v_mul_lo_u32 v5, v4, v5
	v_add_co_u32_e32 v14, vcc, v15, v14
	v_addc_co_u32_e32 v11, vcc, v16, v11, vcc
	v_addc_co_u32_e32 v9, vcc, 0, v9, vcc
	v_add_co_u32_e32 v5, vcc, v11, v5
	v_addc_co_u32_e32 v9, vcc, 0, v9, vcc
	v_add_co_u32_e32 v5, vcc, v3, v5
	v_addc_co_u32_e32 v9, vcc, v4, v9, vcc
	v_mad_u64_u32 v[3:4], s[0:1], v12, v9, 0
	v_mul_hi_u32 v11, v12, v5
	v_mad_u64_u32 v[14:15], s[0:1], v13, v9, 0
	v_add_co_u32_e32 v11, vcc, v11, v3
	v_addc_co_u32_e32 v16, vcc, 0, v4, vcc
	v_mad_u64_u32 v[3:4], s[0:1], v13, v5, 0
	v_add_co_u32_e32 v3, vcc, v11, v3
	v_addc_co_u32_e32 v3, vcc, v16, v4, vcc
	v_addc_co_u32_e32 v4, vcc, 0, v15, vcc
	v_add_co_u32_e32 v5, vcc, v3, v14
	v_addc_co_u32_e32 v9, vcc, 0, v4, vcc
	v_mul_lo_u32 v11, s25, v5
	v_mul_lo_u32 v14, s24, v9
	v_mad_u64_u32 v[3:4], s[0:1], s24, v5, 0
	v_add3_u32 v4, v4, v14, v11
	v_sub_u32_e32 v11, v13, v4
	v_mov_b32_e32 v14, s25
	v_sub_co_u32_e32 v3, vcc, v12, v3
	v_subb_co_u32_e64 v11, s[0:1], v11, v14, vcc
	v_subrev_co_u32_e64 v14, s[0:1], s24, v3
	v_subbrev_co_u32_e64 v11, s[0:1], 0, v11, s[0:1]
	v_cmp_le_u32_e64 s[0:1], s25, v11
	v_cndmask_b32_e64 v15, 0, -1, s[0:1]
	v_cmp_le_u32_e64 s[0:1], s24, v14
	v_cndmask_b32_e64 v14, 0, -1, s[0:1]
	v_cmp_eq_u32_e64 s[0:1], s25, v11
	v_cndmask_b32_e64 v11, v15, v14, s[0:1]
	v_add_co_u32_e64 v14, s[0:1], 2, v5
	v_addc_co_u32_e64 v15, s[0:1], 0, v9, s[0:1]
	v_add_co_u32_e64 v16, s[0:1], 1, v5
	v_addc_co_u32_e64 v17, s[0:1], 0, v9, s[0:1]
	v_subb_co_u32_e32 v4, vcc, v13, v4, vcc
	v_cmp_ne_u32_e64 s[0:1], 0, v11
	v_cmp_le_u32_e32 vcc, s25, v4
	v_cndmask_b32_e64 v11, v17, v15, s[0:1]
	v_cndmask_b32_e64 v15, 0, -1, vcc
	v_cmp_le_u32_e32 vcc, s24, v3
	v_cndmask_b32_e64 v3, 0, -1, vcc
	v_cmp_eq_u32_e32 vcc, s25, v4
	v_cndmask_b32_e32 v3, v15, v3, vcc
	v_cmp_ne_u32_e32 vcc, 0, v3
	v_cndmask_b32_e64 v3, v16, v14, s[0:1]
	v_cndmask_b32_e32 v4, v9, v11, vcc
	v_cndmask_b32_e32 v3, v5, v3, vcc
.LBB0_4:                                ;   in Loop: Header=BB0_2 Depth=1
	s_andn2_saveexec_b64 s[0:1], s[26:27]
	s_cbranch_execz .LBB0_6
; %bb.5:                                ;   in Loop: Header=BB0_2 Depth=1
	v_cvt_f32_u32_e32 v3, s24
	s_sub_i32 s26, 0, s24
	v_rcp_iflag_f32_e32 v3, v3
	v_mul_f32_e32 v3, 0x4f7ffffe, v3
	v_cvt_u32_f32_e32 v3, v3
	v_mul_lo_u32 v4, s26, v3
	v_mul_hi_u32 v4, v3, v4
	v_add_u32_e32 v3, v3, v4
	v_mul_hi_u32 v3, v12, v3
	v_mul_lo_u32 v4, v3, s24
	v_add_u32_e32 v5, 1, v3
	v_sub_u32_e32 v4, v12, v4
	v_subrev_u32_e32 v9, s24, v4
	v_cmp_le_u32_e32 vcc, s24, v4
	v_cndmask_b32_e32 v4, v4, v9, vcc
	v_cndmask_b32_e32 v3, v3, v5, vcc
	v_add_u32_e32 v5, 1, v3
	v_cmp_le_u32_e32 vcc, s24, v4
	v_cndmask_b32_e32 v3, v3, v5, vcc
	v_mov_b32_e32 v4, v10
.LBB0_6:                                ;   in Loop: Header=BB0_2 Depth=1
	s_or_b64 exec, exec, s[0:1]
	v_mul_lo_u32 v5, v4, s24
	v_mul_lo_u32 v9, v3, s25
	v_mad_u64_u32 v[14:15], s[0:1], v3, s24, 0
	s_load_dwordx2 s[0:1], s[6:7], 0x0
	s_load_dwordx2 s[24:25], s[2:3], 0x0
	v_add3_u32 v5, v15, v9, v5
	v_sub_co_u32_e32 v9, vcc, v12, v14
	v_subb_co_u32_e32 v5, vcc, v13, v5, vcc
	s_waitcnt lgkmcnt(0)
	v_mul_lo_u32 v11, s0, v5
	v_mul_lo_u32 v12, s1, v9
	v_mad_u64_u32 v[6:7], s[0:1], s0, v9, v[6:7]
	s_add_u32 s22, s22, 1
	s_addc_u32 s23, s23, 0
	s_add_u32 s2, s2, 8
	v_mul_lo_u32 v5, s24, v5
	v_mul_lo_u32 v13, s25, v9
	v_mad_u64_u32 v[1:2], s[0:1], s24, v9, v[1:2]
	v_add3_u32 v7, v12, v7, v11
	s_addc_u32 s3, s3, 0
	v_mov_b32_e32 v11, s14
	s_add_u32 s6, s6, 8
	v_mov_b32_e32 v12, s15
	s_addc_u32 s7, s7, 0
	v_cmp_ge_u64_e32 vcc, s[22:23], v[11:12]
	s_add_u32 s20, s20, 8
	v_add3_u32 v2, v13, v2, v5
	s_addc_u32 s21, s21, 0
	s_cbranch_vccnz .LBB0_8
; %bb.7:                                ;   in Loop: Header=BB0_2 Depth=1
	v_mov_b32_e32 v13, v4
	v_mov_b32_e32 v12, v3
	s_branch .LBB0_2
.LBB0_8:
	s_mov_b32 s0, 0x88888889
	v_mul_hi_u32 v5, v8, s0
	s_load_dwordx2 s[0:1], s[4:5], 0x28
	s_lshl_b64 s[6:7], s[14:15], 3
	s_add_u32 s2, s18, s6
	v_lshrrev_b32_e32 v5, 3, v5
	v_mul_lo_u32 v5, v5, 15
	s_waitcnt lgkmcnt(0)
	v_cmp_gt_u64_e32 vcc, s[0:1], v[3:4]
	v_cmp_le_u64_e64 s[0:1], s[0:1], v[3:4]
	s_addc_u32 s3, s19, s7
	v_sub_u32_e32 v8, v8, v5
                                        ; implicit-def: $vgpr5
	s_and_saveexec_b64 s[4:5], s[0:1]
	s_xor_b64 s[0:1], exec, s[4:5]
; %bb.9:
	s_mov_b32 s4, 0xf0f0f10
	v_mul_hi_u32 v5, v0, s4
                                        ; implicit-def: $vgpr6_vgpr7
	v_mul_u32_u24_e32 v5, 17, v5
	v_sub_u32_e32 v5, v0, v5
                                        ; implicit-def: $vgpr0
; %bb.10:
	s_or_saveexec_b64 s[4:5], s[0:1]
	s_load_dwordx2 s[2:3], s[2:3], 0x0
	v_mul_u32_u24_e32 v8, 0x45, v8
	v_lshlrev_b32_e32 v28, 2, v8
	s_xor_b64 exec, exec, s[4:5]
	s_cbranch_execz .LBB0_14
; %bb.11:
	s_add_u32 s0, s16, s6
	s_addc_u32 s1, s17, s7
	s_load_dwordx2 s[0:1], s[0:1], 0x0
	s_mov_b32 s6, 0xf0f0f10
	v_mul_hi_u32 v5, v0, s6
	v_lshlrev_b64 v[6:7], 2, v[6:7]
	s_waitcnt lgkmcnt(0)
	v_mul_lo_u32 v11, s1, v3
	v_mul_lo_u32 v12, s0, v4
	v_mad_u64_u32 v[9:10], s[0:1], s0, v3, 0
	v_mul_u32_u24_e32 v5, 17, v5
	v_sub_u32_e32 v5, v0, v5
	v_add3_u32 v10, v10, v12, v11
	v_lshlrev_b64 v[9:10], 2, v[9:10]
	v_mov_b32_e32 v0, s9
	v_add_co_u32_e64 v9, s[0:1], s8, v9
	v_addc_co_u32_e64 v0, s[0:1], v0, v10, s[0:1]
	v_add_co_u32_e64 v6, s[0:1], v9, v6
	v_addc_co_u32_e64 v7, s[0:1], v0, v7, s[0:1]
	v_lshlrev_b32_e32 v0, 2, v5
	v_add_co_u32_e64 v9, s[0:1], v6, v0
	v_addc_co_u32_e64 v10, s[0:1], 0, v7, s[0:1]
	global_load_dword v11, v[9:10], off
	global_load_dword v12, v[9:10], off offset:68
	global_load_dword v13, v[9:10], off offset:136
	;; [unrolled: 1-line block ×3, first 2 shown]
	v_add3_u32 v0, 0, v28, v0
	v_cmp_eq_u32_e64 s[0:1], 16, v5
	s_waitcnt vmcnt(2)
	ds_write2_b32 v0, v11, v12 offset1:17
	s_waitcnt vmcnt(0)
	ds_write2_b32 v0, v13, v14 offset0:34 offset1:51
	s_and_saveexec_b64 s[6:7], s[0:1]
	s_cbranch_execz .LBB0_13
; %bb.12:
	global_load_dword v5, v[6:7], off offset:272
	s_waitcnt vmcnt(0)
	ds_write_b32 v0, v5 offset:208
	v_mov_b32_e32 v5, 16
.LBB0_13:
	s_or_b64 exec, exec, s[6:7]
.LBB0_14:
	s_or_b64 exec, exec, s[4:5]
	v_lshl_add_u32 v0, v8, 2, 0
	v_lshlrev_b32_e32 v9, 2, v5
	v_add_u32_e32 v22, v0, v9
	s_waitcnt lgkmcnt(0)
	s_barrier
	v_sub_u32_e32 v8, v0, v9
	ds_read_u16 v6, v22
	ds_read_u16 v7, v8 offset:272
	v_cmp_ne_u32_e64 s[0:1], 0, v5
	s_waitcnt lgkmcnt(0)
	v_add_f16_e32 v11, v7, v6
	v_sub_f16_e32 v10, v6, v7
                                        ; implicit-def: $vgpr6_vgpr7
	s_and_saveexec_b64 s[4:5], s[0:1]
	s_xor_b64 s[4:5], exec, s[4:5]
	s_cbranch_execz .LBB0_16
; %bb.15:
	v_mov_b32_e32 v6, 0
	v_lshlrev_b64 v[12:13], 2, v[5:6]
	v_mov_b32_e32 v7, s13
	v_add_co_u32_e64 v12, s[0:1], s12, v12
	v_addc_co_u32_e64 v13, s[0:1], v7, v13, s[0:1]
	global_load_dword v7, v[12:13], off offset:204
	ds_read_u16 v12, v8 offset:274
	ds_read_u16 v13, v22 offset:2
	s_waitcnt lgkmcnt(0)
	v_add_f16_e32 v14, v12, v13
	v_sub_f16_e32 v12, v13, v12
	s_waitcnt vmcnt(0)
	v_lshrrev_b32_e32 v13, 16, v7
	v_fma_f16 v15, v10, v13, v11
	v_fma_f16 v16, v14, v13, v12
	v_fma_f16 v11, -v10, v13, v11
	v_fma_f16 v12, v14, v13, -v12
	v_fma_f16 v13, -v7, v14, v15
	v_fma_f16 v15, v10, v7, v16
	v_fma_f16 v11, v7, v14, v11
	;; [unrolled: 1-line block ×3, first 2 shown]
	v_pack_b32_f16 v10, v13, v15
	v_pack_b32_f16 v7, v11, v7
	ds_write_b32 v22, v10
	ds_write_b32 v8, v7 offset:272
	v_mov_b32_e32 v7, v6
	v_mov_b32_e32 v6, v5
                                        ; implicit-def: $vgpr11
                                        ; implicit-def: $vgpr10
.LBB0_16:
	s_andn2_saveexec_b64 s[0:1], s[4:5]
	s_cbranch_execz .LBB0_18
; %bb.17:
	v_pack_b32_f16 v6, v11, v10
	ds_write_b32 v22, v6
	ds_read_b32 v6, v0 offset:136
	s_mov_b32 s4, 0xc0004000
	s_waitcnt lgkmcnt(0)
	v_pk_mul_f16 v10, v6, s4
	v_mov_b32_e32 v6, 0
	v_mov_b32_e32 v7, 0
	ds_write_b32 v0, v10 offset:136
.LBB0_18:
	s_or_b64 exec, exec, s[0:1]
	s_add_u32 s0, s12, 0xcc
	v_lshlrev_b64 v[6:7], 2, v[6:7]
	s_addc_u32 s1, s13, 0
	v_mov_b32_e32 v10, s1
	v_add_co_u32_e64 v6, s[0:1], s0, v6
	v_addc_co_u32_e64 v7, s[0:1], v10, v7, s[0:1]
	global_load_dword v6, v[6:7], off offset:68
	ds_read_b32 v7, v22 offset:68
	ds_read_b32 v10, v8 offset:204
	v_add3_u32 v23, 0, v9, v28
	v_cmp_gt_u32_e64 s[0:1], 4, v5
	s_waitcnt lgkmcnt(0)
	v_add_f16_e32 v9, v7, v10
	v_add_f16_sdwa v11, v10, v7 dst_sel:DWORD dst_unused:UNUSED_PAD src0_sel:WORD_1 src1_sel:WORD_1
	v_sub_f16_e32 v12, v7, v10
	v_sub_f16_sdwa v7, v7, v10 dst_sel:DWORD dst_unused:UNUSED_PAD src0_sel:WORD_1 src1_sel:WORD_1
	s_waitcnt vmcnt(0)
	v_lshrrev_b32_e32 v10, 16, v6
	v_fma_f16 v13, v12, v10, v9
	v_fma_f16 v14, v11, v10, v7
	v_fma_f16 v9, -v12, v10, v9
	v_fma_f16 v7, v11, v10, -v7
	v_fma_f16 v10, -v6, v11, v13
	v_fma_f16 v13, v12, v6, v14
	v_fma_f16 v9, v6, v11, v9
	;; [unrolled: 1-line block ×3, first 2 shown]
	v_pack_b32_f16 v7, v10, v13
	v_pack_b32_f16 v6, v9, v6
	ds_write_b32 v22, v7 offset:68
	ds_write_b32 v8, v6 offset:204
	s_waitcnt lgkmcnt(0)
	s_barrier
	s_barrier
	ds_read_b32 v24, v22
	ds_read2_b32 v[6:7], v23 offset0:4 offset1:8
	ds_read2_b32 v[10:11], v23 offset0:12 offset1:16
	;; [unrolled: 1-line block ×8, first 2 shown]
	s_waitcnt lgkmcnt(0)
	s_barrier
	s_and_saveexec_b64 s[4:5], s[0:1]
	s_cbranch_execz .LBB0_20
; %bb.19:
	v_pk_add_f16 v29, v6, v24
	v_pk_add_f16 v29, v29, v7
	;; [unrolled: 1-line block ×7, first 2 shown]
	v_pk_add_f16 v27, v20, v19 neg_lo:[0,1] neg_hi:[0,1]
	v_pk_add_f16 v20, v29, v20
	v_pk_add_f16 v20, v20, v21
	;; [unrolled: 1-line block ×3, first 2 shown]
	v_pk_add_f16 v21, v21, v18 neg_lo:[0,1] neg_hi:[0,1]
	v_pk_add_f16 v18, v20, v18
	v_pk_add_f16 v18, v18, v19
	;; [unrolled: 1-line block ×3, first 2 shown]
	v_pk_add_f16 v19, v14, v17 neg_lo:[0,1] neg_hi:[0,1]
	v_pk_add_f16 v14, v16, v15
	v_pk_add_f16 v15, v15, v16 neg_lo:[0,1] neg_hi:[0,1]
	v_pk_add_f16 v16, v18, v16
	v_pk_add_f16 v16, v16, v17
	;; [unrolled: 1-line block ×3, first 2 shown]
	v_pk_add_f16 v11, v11, v12 neg_lo:[0,1] neg_hi:[0,1]
	v_pk_add_f16 v12, v16, v12
	v_pk_add_f16 v18, v9, v6
	;; [unrolled: 1-line block ×3, first 2 shown]
	s_movk_i32 s1, 0x39e9
	v_pk_add_f16 v20, v13, v10
	v_pk_add_f16 v10, v10, v13 neg_lo:[0,1] neg_hi:[0,1]
	v_pk_add_f16 v13, v6, v9 neg_lo:[0,1] neg_hi:[0,1]
	v_pk_add_f16 v16, v8, v7
	s_movk_i32 s0, 0x2de8
	s_movk_i32 s16, 0x3964
	v_mul_f16_sdwa v31, v18, s1 dst_sel:DWORD dst_unused:UNUSED_PAD src0_sel:WORD_1 src1_sel:DWORD
	v_pk_add_f16 v6, v12, v8
	v_pk_add_f16 v30, v7, v8 neg_lo:[0,1] neg_hi:[0,1]
	s_movk_i32 s17, 0x3bf7
	v_pk_add_f16 v7, v6, v9
	v_fma_f16 v8, v13, s16, v31
	v_mul_f16_sdwa v9, v16, s0 dst_sel:DWORD dst_unused:UNUSED_PAD src0_sel:WORD_1 src1_sel:DWORD
	v_add_f16_sdwa v8, v8, v24 dst_sel:DWORD dst_unused:UNUSED_PAD src0_sel:DWORD src1_sel:WORD_1
	v_fma_f16 v12, v30, s17, v9
	s_mov_b32 s6, 0xb8d2
	v_mul_u32_u24_e32 v6, 0x44, v5
	v_add_f16_e32 v8, v12, v8
	s_movk_i32 s19, 0x3a62
	v_mul_f16_sdwa v12, v20, s6 dst_sel:DWORD dst_unused:UNUSED_PAD src0_sel:WORD_1 src1_sel:DWORD
	v_add3_u32 v6, 0, v6, v28
	v_fma_f16 v28, v10, s19, v12
	s_mov_b32 s7, 0xbbdd
	v_add_f16_e32 v8, v28, v8
	s_movk_i32 s27, 0x31e1
	v_mul_f16_sdwa v28, v17, s7 dst_sel:DWORD dst_unused:UNUSED_PAD src0_sel:WORD_1 src1_sel:DWORD
	v_fma_f16 v32, v11, s27, v28
	s_mov_b32 s8, 0xbacd
	v_add_f16_e32 v8, v32, v8
	s_mov_b32 s18, 0xb836
	v_mul_f16_sdwa v32, v29, s8 dst_sel:DWORD dst_unused:UNUSED_PAD src0_sel:WORD_1 src1_sel:DWORD
	v_fma_f16 v33, v19, s18, v32
	s_mov_b32 s9, 0xb461
	v_add_f16_e32 v8, v33, v8
	s_mov_b32 s20, 0xbbb2
	v_mul_f16_sdwa v33, v14, s9 dst_sel:DWORD dst_unused:UNUSED_PAD src0_sel:WORD_1 src1_sel:DWORD
	v_fma_f16 v34, v15, s20, v33
	s_movk_i32 s14, 0x3722
	v_add_f16_e32 v8, v34, v8
	s_mov_b32 s25, 0xbb29
	v_mul_f16_sdwa v34, v26, s14 dst_sel:DWORD dst_unused:UNUSED_PAD src0_sel:WORD_1 src1_sel:DWORD
	v_fma_f16 v35, v27, s25, v34
	s_movk_i32 s15, 0x3b76
	v_add_f16_e32 v8, v35, v8
	s_mov_b32 s21, 0xb5c8
	v_mul_f16_sdwa v35, v25, s15 dst_sel:DWORD dst_unused:UNUSED_PAD src0_sel:WORD_1 src1_sel:DWORD
	v_fma_f16 v36, v21, s21, v35
	s_mov_b32 s26, 0xb964
	v_add_f16_e32 v8, v36, v8
	s_mov_b32 s24, 0xbbf7
	v_mul_f16_sdwa v36, v13, s26 dst_sel:DWORD dst_unused:UNUSED_PAD src0_sel:WORD_1 src1_sel:DWORD
	v_fma_f16 v37, v18, s1, v36
	v_mul_f16_sdwa v38, v30, s24 dst_sel:DWORD dst_unused:UNUSED_PAD src0_sel:WORD_1 src1_sel:DWORD
	v_add_f16_e32 v37, v37, v24
	v_fma_f16 v39, v16, s0, v38
	s_mov_b32 s22, 0xba62
	v_add_f16_e32 v37, v39, v37
	v_mul_f16_sdwa v39, v10, s22 dst_sel:DWORD dst_unused:UNUSED_PAD src0_sel:WORD_1 src1_sel:DWORD
	v_fma_f16 v40, v20, s6, v39
	s_mov_b32 s23, 0xb1e1
	v_add_f16_e32 v37, v40, v37
	v_mul_f16_sdwa v40, v11, s23 dst_sel:DWORD dst_unused:UNUSED_PAD src0_sel:WORD_1 src1_sel:DWORD
	v_fma_f16 v41, v17, s7, v40
	s_movk_i32 s31, 0x3836
	v_add_f16_e32 v37, v41, v37
	v_mul_f16_sdwa v41, v19, s31 dst_sel:DWORD dst_unused:UNUSED_PAD src0_sel:WORD_1 src1_sel:DWORD
	v_fma_f16 v42, v29, s8, v41
	s_movk_i32 s30, 0x3bb2
	;; [unrolled: 4-line block ×4, first 2 shown]
	v_add_f16_e32 v37, v44, v37
	v_mul_f16_sdwa v44, v21, s28 dst_sel:DWORD dst_unused:UNUSED_PAD src0_sel:WORD_1 src1_sel:DWORD
	v_fma_f16 v45, v25, s15, v44
	v_add_f16_e32 v37, v45, v37
	v_mul_f16_sdwa v45, v18, s15 dst_sel:DWORD dst_unused:UNUSED_PAD src0_sel:WORD_1 src1_sel:DWORD
	v_fma_f16 v46, v13, s28, v45
	v_mul_f16_sdwa v47, v16, s1 dst_sel:DWORD dst_unused:UNUSED_PAD src0_sel:WORD_1 src1_sel:DWORD
	v_add_f16_sdwa v46, v46, v24 dst_sel:DWORD dst_unused:UNUSED_PAD src0_sel:DWORD src1_sel:WORD_1
	v_fma_f16 v48, v30, s16, v47
	v_add_f16_e32 v46, v48, v46
	v_mul_f16_sdwa v48, v20, s14 dst_sel:DWORD dst_unused:UNUSED_PAD src0_sel:WORD_1 src1_sel:DWORD
	v_fma_f16 v49, v10, s29, v48
	v_add_f16_e32 v46, v49, v46
	v_mul_f16_sdwa v49, v17, s0 dst_sel:DWORD dst_unused:UNUSED_PAD src0_sel:WORD_1 src1_sel:DWORD
	;; [unrolled: 3-line block ×7, first 2 shown]
	v_fma_f16 v55, v18, s15, v54
	v_mul_f16_sdwa v56, v30, s26 dst_sel:DWORD dst_unused:UNUSED_PAD src0_sel:WORD_1 src1_sel:DWORD
	v_add_f16_e32 v55, v55, v24
	v_fma_f16 v57, v16, s1, v56
	v_add_f16_e32 v55, v57, v55
	v_mul_f16_sdwa v57, v10, s25 dst_sel:DWORD dst_unused:UNUSED_PAD src0_sel:WORD_1 src1_sel:DWORD
	v_fma_f16 v58, v20, s14, v57
	v_add_f16_e32 v55, v58, v55
	v_mul_f16_sdwa v58, v11, s24 dst_sel:DWORD dst_unused:UNUSED_PAD src0_sel:WORD_1 src1_sel:DWORD
	v_fma_f16 v59, v17, s0, v58
	v_add_f16_e32 v55, v59, v55
	v_mul_f16_sdwa v59, v19, s20 dst_sel:DWORD dst_unused:UNUSED_PAD src0_sel:WORD_1 src1_sel:DWORD
	v_fma_f16 v60, v29, s9, v59
	v_add_f16_e32 v55, v60, v55
	v_mul_f16_sdwa v60, v15, s22 dst_sel:DWORD dst_unused:UNUSED_PAD src0_sel:WORD_1 src1_sel:DWORD
	v_fma_f16 v61, v14, s6, v60
	v_add_f16_e32 v55, v61, v55
	v_mul_f16_sdwa v61, v27, s18 dst_sel:DWORD dst_unused:UNUSED_PAD src0_sel:WORD_1 src1_sel:DWORD
	v_fma_f16 v62, v26, s8, v61
	v_add_f16_e32 v55, v62, v55
	v_mul_f16_sdwa v62, v21, s23 dst_sel:DWORD dst_unused:UNUSED_PAD src0_sel:WORD_1 src1_sel:DWORD
	v_fma_f16 v63, v25, s7, v62
	v_add_f16_e32 v55, v63, v55
	v_pack_b32_f16 v8, v37, v8
	v_pack_b32_f16 v37, v55, v46
	ds_write2_b32 v6, v37, v8 offset0:1 offset1:2
	v_mul_f16_sdwa v8, v18, s0 dst_sel:DWORD dst_unused:UNUSED_PAD src0_sel:WORD_1 src1_sel:DWORD
	v_fma_f16 v37, v13, s17, v8
	v_mul_f16_sdwa v46, v16, s7 dst_sel:DWORD dst_unused:UNUSED_PAD src0_sel:WORD_1 src1_sel:DWORD
	v_add_f16_sdwa v37, v37, v24 dst_sel:DWORD dst_unused:UNUSED_PAD src0_sel:DWORD src1_sel:WORD_1
	v_fma_f16 v55, v30, s27, v46
	v_add_f16_e32 v37, v55, v37
	v_mul_f16_sdwa v55, v20, s9 dst_sel:DWORD dst_unused:UNUSED_PAD src0_sel:WORD_1 src1_sel:DWORD
	v_fma_f16 v63, v10, s20, v55
	v_add_f16_e32 v37, v63, v37
	v_mul_f16_sdwa v63, v17, s15 dst_sel:DWORD dst_unused:UNUSED_PAD src0_sel:WORD_1 src1_sel:DWORD
	;; [unrolled: 3-line block ×7, first 2 shown]
	v_fma_f16 v69, v18, s0, v68
	v_mul_f16_sdwa v70, v30, s23 dst_sel:DWORD dst_unused:UNUSED_PAD src0_sel:WORD_1 src1_sel:DWORD
	v_add_f16_e32 v69, v69, v24
	v_fma_f16 v71, v16, s7, v70
	v_add_f16_e32 v69, v71, v69
	v_mul_f16_sdwa v71, v10, s30 dst_sel:DWORD dst_unused:UNUSED_PAD src0_sel:WORD_1 src1_sel:DWORD
	v_fma_f16 v72, v20, s9, v71
	v_add_f16_e32 v69, v72, v69
	v_mul_f16_sdwa v72, v11, s28 dst_sel:DWORD dst_unused:UNUSED_PAD src0_sel:WORD_1 src1_sel:DWORD
	;; [unrolled: 3-line block ×7, first 2 shown]
	v_fma_f16 v78, v13, s29, v77
	v_mul_f16_sdwa v79, v16, s6 dst_sel:DWORD dst_unused:UNUSED_PAD src0_sel:WORD_1 src1_sel:DWORD
	v_add_f16_sdwa v78, v78, v24 dst_sel:DWORD dst_unused:UNUSED_PAD src0_sel:DWORD src1_sel:WORD_1
	v_fma_f16 v80, v30, s19, v79
	v_add_f16_e32 v78, v80, v78
	v_mul_f16_sdwa v80, v20, s7 dst_sel:DWORD dst_unused:UNUSED_PAD src0_sel:WORD_1 src1_sel:DWORD
	v_fma_f16 v81, v10, s23, v80
	v_add_f16_e32 v78, v81, v78
	v_mul_f16_sdwa v81, v17, s9 dst_sel:DWORD dst_unused:UNUSED_PAD src0_sel:WORD_1 src1_sel:DWORD
	;; [unrolled: 3-line block ×7, first 2 shown]
	v_fma_f16 v87, v18, s14, v86
	v_mul_f16_sdwa v88, v30, s22 dst_sel:DWORD dst_unused:UNUSED_PAD src0_sel:WORD_1 src1_sel:DWORD
	v_add_f16_e32 v87, v87, v24
	v_fma_f16 v89, v16, s6, v88
	v_add_f16_e32 v87, v89, v87
	v_mul_f16_sdwa v89, v10, s27 dst_sel:DWORD dst_unused:UNUSED_PAD src0_sel:WORD_1 src1_sel:DWORD
	v_fma_f16 v90, v20, s7, v89
	v_add_f16_e32 v87, v90, v87
	v_mul_f16_sdwa v90, v11, s30 dst_sel:DWORD dst_unused:UNUSED_PAD src0_sel:WORD_1 src1_sel:DWORD
	;; [unrolled: 3-line block ×6, first 2 shown]
	v_fma_f16 v95, v25, s8, v94
	v_add_f16_e32 v87, v95, v87
	v_pack_b32_f16 v37, v69, v37
	v_pack_b32_f16 v69, v87, v78
	ds_write2_b32 v6, v69, v37 offset0:3 offset1:4
	v_pk_mul_f16 v37, v13, s23 op_sel_hi:[1,0]
	v_pk_fma_f16 v69, v18, s7, v37 op_sel:[0,0,1] op_sel_hi:[1,0,0]
	v_pk_mul_f16 v78, v30, s28 op_sel_hi:[1,0]
	v_pk_add_f16 v69, v69, v24
	v_pk_fma_f16 v87, v16, s15, v78 op_sel:[0,0,1] op_sel_hi:[1,0,0]
	v_pk_add_f16 v69, v87, v69
	v_pk_mul_f16 v87, v10, s18 op_sel_hi:[1,0]
	v_pk_fma_f16 v95, v20, s8, v87 op_sel:[0,0,1] op_sel_hi:[1,0,0]
	v_pk_add_f16 v69, v95, v69
	v_pk_mul_f16 v95, v11, s16 op_sel_hi:[1,0]
	;; [unrolled: 3-line block ×6, first 2 shown]
	v_pk_fma_f16 v100, v25, s0, v99 op_sel:[0,0,1] op_sel_hi:[1,0,0]
	v_pk_add_f16 v69, v100, v69
	v_mul_f16_sdwa v100, v18, s8 dst_sel:DWORD dst_unused:UNUSED_PAD src0_sel:WORD_1 src1_sel:DWORD
	v_fma_f16 v101, v13, s31, v100
	v_mul_f16_sdwa v102, v16, s14 dst_sel:DWORD dst_unused:UNUSED_PAD src0_sel:WORD_1 src1_sel:DWORD
	v_add_f16_sdwa v101, v101, v24 dst_sel:DWORD dst_unused:UNUSED_PAD src0_sel:DWORD src1_sel:WORD_1
	v_fma_f16 v103, v30, s25, v102
	v_add_f16_e32 v101, v103, v101
	v_mul_f16_sdwa v103, v20, s0 dst_sel:DWORD dst_unused:UNUSED_PAD src0_sel:WORD_1 src1_sel:DWORD
	v_fma_f16 v104, v10, s17, v103
	v_add_f16_e32 v101, v104, v101
	v_mul_f16_sdwa v104, v17, s6 dst_sel:DWORD dst_unused:UNUSED_PAD src0_sel:WORD_1 src1_sel:DWORD
	;; [unrolled: 3-line block ×7, first 2 shown]
	v_fma_f16 v110, v18, s8, v109
	v_mul_f16_sdwa v111, v30, s29 dst_sel:DWORD dst_unused:UNUSED_PAD src0_sel:WORD_1 src1_sel:DWORD
	v_add_f16_e32 v110, v110, v24
	v_fma_f16 v112, v16, s14, v111
	v_add_f16_e32 v110, v112, v110
	v_mul_f16_sdwa v112, v10, s24 dst_sel:DWORD dst_unused:UNUSED_PAD src0_sel:WORD_1 src1_sel:DWORD
	v_fma_f16 v113, v20, s0, v112
	v_add_f16_e32 v110, v113, v110
	v_mul_f16_sdwa v113, v11, s19 dst_sel:DWORD dst_unused:UNUSED_PAD src0_sel:WORD_1 src1_sel:DWORD
	;; [unrolled: 3-line block ×7, first 2 shown]
	v_fma_f16 v119, v13, s19, v118
	v_mul_f16_sdwa v120, v16, s9 dst_sel:DWORD dst_unused:UNUSED_PAD src0_sel:WORD_1 src1_sel:DWORD
	v_add_f16_sdwa v119, v119, v24 dst_sel:DWORD dst_unused:UNUSED_PAD src0_sel:DWORD src1_sel:WORD_1
	v_fma_f16 v121, v30, s20, v120
	v_add_f16_e32 v119, v121, v119
	v_mul_f16_sdwa v121, v20, s15 dst_sel:DWORD dst_unused:UNUSED_PAD src0_sel:WORD_1 src1_sel:DWORD
	v_fma_f16 v122, v10, s28, v121
	v_add_f16_e32 v119, v122, v119
	v_mul_f16_sdwa v122, v17, s8 dst_sel:DWORD dst_unused:UNUSED_PAD src0_sel:WORD_1 src1_sel:DWORD
	;; [unrolled: 3-line block ×7, first 2 shown]
	v_fma_f16 v128, v18, s6, v127
	v_mul_f16_sdwa v129, v30, s30 dst_sel:DWORD dst_unused:UNUSED_PAD src0_sel:WORD_1 src1_sel:DWORD
	v_add_f16_e32 v128, v128, v24
	v_fma_f16 v130, v16, s9, v129
	v_add_f16_e32 v128, v130, v128
	v_mul_f16_sdwa v130, v10, s21 dst_sel:DWORD dst_unused:UNUSED_PAD src0_sel:WORD_1 src1_sel:DWORD
	v_fma_f16 v131, v20, s15, v130
	v_add_f16_e32 v128, v131, v128
	v_mul_f16_sdwa v131, v11, s18 dst_sel:DWORD dst_unused:UNUSED_PAD src0_sel:WORD_1 src1_sel:DWORD
	;; [unrolled: 3-line block ×7, first 2 shown]
	v_fma_f16 v137, v13, s30, v136
	v_mul_f16_sdwa v138, v16, s8 dst_sel:DWORD dst_unused:UNUSED_PAD src0_sel:WORD_1 src1_sel:DWORD
	v_add_f16_sdwa v137, v137, v24 dst_sel:DWORD dst_unused:UNUSED_PAD src0_sel:DWORD src1_sel:WORD_1
	v_fma_f16 v139, v30, s18, v138
	v_add_f16_e32 v137, v139, v137
	v_mul_f16_sdwa v139, v20, s1 dst_sel:DWORD dst_unused:UNUSED_PAD src0_sel:WORD_1 src1_sel:DWORD
	v_fma_f16 v140, v10, s26, v139
	v_add_f16_e32 v137, v140, v137
	v_mul_f16_sdwa v140, v17, s14 dst_sel:DWORD dst_unused:UNUSED_PAD src0_sel:WORD_1 src1_sel:DWORD
	v_fma_f16 v141, v11, s29, v140
	v_add_f16_e32 v137, v141, v137
	v_mul_f16_sdwa v141, v29, s7 dst_sel:DWORD dst_unused:UNUSED_PAD src0_sel:WORD_1 src1_sel:DWORD
	v_fma_f16 v142, v19, s27, v141
	v_add_f16_e32 v137, v142, v137
	v_mul_f16_sdwa v142, v14, s0 dst_sel:DWORD dst_unused:UNUSED_PAD src0_sel:WORD_1 src1_sel:DWORD
	v_fma_f16 v143, v15, s24, v142
	v_add_f16_e32 v137, v143, v137
	v_mul_f16_sdwa v143, v26, s15 dst_sel:DWORD dst_unused:UNUSED_PAD src0_sel:WORD_1 src1_sel:DWORD
	v_fma_f16 v144, v27, s28, v143
	v_add_f16_e32 v137, v144, v137
	v_mul_f16_sdwa v144, v25, s6 dst_sel:DWORD dst_unused:UNUSED_PAD src0_sel:WORD_1 src1_sel:DWORD
	v_fma_f16 v145, v21, s19, v144
	v_fma_f16 v100, v13, s18, v100
	;; [unrolled: 1-line block ×8, first 2 shown]
	v_mul_f16_sdwa v13, v13, s20 dst_sel:DWORD dst_unused:UNUSED_PAD src0_sel:WORD_1 src1_sel:DWORD
	v_add_f16_e32 v137, v145, v137
	v_fma_f16 v102, v30, s29, v102
	v_fma_f16 v120, v30, s30, v120
	;; [unrolled: 1-line block ×7, first 2 shown]
	v_mul_f16_sdwa v30, v30, s31 dst_sel:DWORD dst_unused:UNUSED_PAD src0_sel:WORD_1 src1_sel:DWORD
	v_fma_f16 v145, v18, s9, v13
	v_fma_f16 v109, v18, s8, -v109
	v_fma_f16 v127, v18, s6, -v127
	;; [unrolled: 1-line block ×7, first 2 shown]
	v_pk_fma_f16 v18, v18, s7, v37 op_sel:[0,0,1] op_sel_hi:[1,0,0] neg_lo:[0,0,1] neg_hi:[0,0,1]
	v_add_f16_e32 v145, v145, v24
	v_fma_f16 v146, v16, s8, v30
	v_fma_f16 v103, v10, s24, v103
	;; [unrolled: 1-line block ×8, first 2 shown]
	v_mul_f16_sdwa v10, v10, s16 dst_sel:DWORD dst_unused:UNUSED_PAD src0_sel:WORD_1 src1_sel:DWORD
	v_fma_f16 v37, v16, s14, -v111
	v_fma_f16 v111, v16, s9, -v129
	;; [unrolled: 1-line block ×7, first 2 shown]
	v_pk_fma_f16 v16, v16, s15, v78 op_sel:[0,0,1] op_sel_hi:[1,0,0] neg_lo:[0,0,1] neg_hi:[0,0,1]
	v_pk_add_f16 v18, v18, v24
	v_add_f16_e32 v145, v146, v145
	v_fma_f16 v146, v20, s1, v10
	v_fma_f16 v104, v11, s19, v104
	v_fma_f16 v122, v11, s18, v122
	v_fma_f16 v140, v11, s25, v140
	v_fma_f16 v63, v11, s28, v63
	v_fma_f16 v81, v11, s30, v81
	v_fma_f16 v28, v11, s23, v28
	v_fma_f16 v49, v11, s24, v49
	v_mul_f16_sdwa v11, v11, s25 dst_sel:DWORD dst_unused:UNUSED_PAD src0_sel:WORD_1 src1_sel:DWORD
	v_pk_add_f16 v16, v16, v18
	v_fma_f16 v18, v20, s0, -v112
	v_fma_f16 v78, v20, s15, -v130
	v_fma_f16 v10, v20, s1, -v10
	v_fma_f16 v71, v20, s9, -v71
	v_fma_f16 v89, v20, s7, -v89
	v_fma_f16 v39, v20, s6, -v39
	v_fma_f16 v57, v20, s14, -v57
	v_pk_fma_f16 v20, v20, s8, v87 op_sel:[0,0,1] op_sel_hi:[1,0,0] neg_lo:[0,0,1] neg_hi:[0,0,1]
	v_add_f16_e32 v145, v146, v145
	v_fma_f16 v146, v17, s14, v11
	v_fma_f16 v105, v19, s21, v105
	v_fma_f16 v123, v19, s17, v123
	v_fma_f16 v141, v19, s23, v141
	v_fma_f16 v64, v19, s25, v64
	v_fma_f16 v82, v19, s16, v82
	v_fma_f16 v32, v19, s31, v32
	v_fma_f16 v50, v19, s20, v50
	v_mul_f16_sdwa v19, v19, s23 dst_sel:DWORD dst_unused:UNUSED_PAD src0_sel:WORD_1 src1_sel:DWORD
	v_pk_add_f16 v16, v20, v16
	v_fma_f16 v20, v17, s6, -v113
	v_fma_f16 v87, v17, s8, -v131
	v_fma_f16 v11, v17, s14, -v11
	v_fma_f16 v72, v17, s15, -v72
	v_fma_f16 v90, v17, s9, -v90
	v_fma_f16 v40, v17, s7, -v40
	v_fma_f16 v58, v17, s0, -v58
	v_pk_fma_f16 v17, v17, s1, v95 op_sel:[0,0,1] op_sel_hi:[1,0,0] neg_lo:[0,0,1] neg_hi:[0,0,1]
	;; [unrolled: 19-line block ×5, first 2 shown]
	v_add_f16_e32 v145, v146, v145
	v_fma_f16 v146, v25, s6, v21
	v_pk_add_f16 v14, v26, v14
	v_fma_f16 v26, v25, s9, -v117
	v_fma_f16 v98, v25, s14, -v135
	;; [unrolled: 1-line block ×7, first 2 shown]
	v_pk_fma_f16 v25, v25, s0, v99 op_sel:[0,0,1] op_sel_hi:[1,0,0] neg_lo:[0,0,1] neg_hi:[0,0,1]
	v_add_f16_e32 v99, v109, v24
	v_add_f16_e32 v37, v37, v99
	;; [unrolled: 1-line block ×10, first 2 shown]
	v_pk_add_f16 v14, v25, v14
	v_add_f16_sdwa v25, v100, v24 dst_sel:DWORD dst_unused:UNUSED_PAD src0_sel:DWORD src1_sel:WORD_1
	v_add_f16_e32 v16, v16, v17
	v_add_f16_sdwa v17, v118, v24 dst_sel:DWORD dst_unused:UNUSED_PAD src0_sel:DWORD src1_sel:WORD_1
	v_add_f16_e32 v18, v127, v24
	v_add_f16_e32 v10, v19, v10
	v_add_f16_sdwa v19, v31, v24 dst_sel:DWORD dst_unused:UNUSED_PAD src0_sel:DWORD src1_sel:WORD_1
	v_add_f16_e32 v25, v102, v25
	v_add_f16_e32 v17, v120, v17
	;; [unrolled: 1-line block ×3, first 2 shown]
	v_add_f16_sdwa v20, v136, v24 dst_sel:DWORD dst_unused:UNUSED_PAD src0_sel:DWORD src1_sel:WORD_1
	v_add_f16_e32 v10, v15, v10
	v_add_f16_sdwa v8, v8, v24 dst_sel:DWORD dst_unused:UNUSED_PAD src0_sel:DWORD src1_sel:WORD_1
	v_add_f16_e32 v11, v68, v24
	v_add_f16_e32 v9, v9, v19
	v_add_f16_e32 v25, v103, v25
	v_add_f16_e32 v17, v121, v17
	v_add_f16_e32 v18, v78, v18
	v_add_f16_e32 v20, v138, v20
	v_add_f16_e32 v10, v27, v10
	v_add_f16_e32 v8, v46, v8
	v_add_f16_e32 v11, v70, v11
	v_add_f16_sdwa v13, v77, v24 dst_sel:DWORD dst_unused:UNUSED_PAD src0_sel:DWORD src1_sel:WORD_1
	v_add_f16_e32 v15, v86, v24
	v_add_f16_e32 v9, v12, v9
	;; [unrolled: 1-line block ×13, first 2 shown]
	v_add_f16_sdwa v19, v45, v24 dst_sel:DWORD dst_unused:UNUSED_PAD src0_sel:DWORD src1_sel:WORD_1
	v_add_f16_e32 v21, v54, v24
	v_add_f16_e32 v145, v146, v145
	;; [unrolled: 1-line block ×26, first 2 shown]
	v_pack_b32_f16 v24, v128, v119
	v_pack_b32_f16 v26, v145, v137
	v_add_f16_e32 v25, v107, v25
	v_add_f16_e32 v17, v125, v17
	;; [unrolled: 1-line block ×12, first 2 shown]
	ds_write2_b32 v6, v26, v24 offset0:5 offset1:6
	v_pack_b32_f16 v24, v110, v101
	s_mov_b32 s0, 0xffff
	v_add_f16_e32 v25, v108, v25
	v_add_f16_e32 v17, v126, v17
	v_add_f16_e32 v18, v98, v18
	v_add_f16_e32 v20, v143, v20
	v_add_f16_e32 v8, v66, v8
	v_add_f16_e32 v11, v75, v11
	v_add_f16_e32 v13, v83, v13
	v_add_f16_e32 v15, v92, v15
	v_add_f16_e32 v9, v33, v9
	v_add_f16_e32 v12, v42, v12
	v_add_f16_e32 v19, v50, v19
	v_add_f16_e32 v21, v59, v21
	ds_write2_b32 v6, v7, v24 offset1:7
	v_bfi_b32 v7, s0, v14, v69
	v_bfi_b32 v14, s0, v69, v14
	v_add_f16_e32 v20, v144, v20
	v_add_f16_e32 v8, v67, v8
	;; [unrolled: 1-line block ×9, first 2 shown]
	ds_write2_b32 v6, v14, v7 offset0:8 offset1:9
	v_pack_b32_f16 v7, v18, v17
	v_pack_b32_f16 v14, v16, v25
	v_add_f16_e32 v13, v85, v13
	v_add_f16_e32 v15, v94, v15
	v_add_f16_e32 v9, v35, v9
	v_add_f16_e32 v12, v44, v12
	v_add_f16_e32 v19, v52, v19
	v_add_f16_e32 v21, v61, v21
	ds_write2_b32 v6, v14, v7 offset0:10 offset1:11
	v_pack_b32_f16 v7, v11, v8
	v_pack_b32_f16 v8, v10, v20
	v_add_f16_e32 v19, v53, v19
	v_add_f16_e32 v21, v62, v21
	ds_write2_b32 v6, v8, v7 offset0:12 offset1:13
	v_pack_b32_f16 v7, v12, v9
	v_pack_b32_f16 v8, v15, v13
	ds_write2_b32 v6, v8, v7 offset0:14 offset1:15
	v_pack_b32_f16 v7, v21, v19
	ds_write_b32 v6, v7 offset:64
.LBB0_20:
	s_or_b64 exec, exec, s[4:5]
	v_mul_u32_u24_e32 v6, 3, v5
	v_lshlrev_b32_e32 v6, 2, v6
	s_waitcnt lgkmcnt(0)
	s_barrier
	global_load_dwordx3 v[6:8], v6, s[12:13]
	ds_read2_b32 v[9:10], v23 offset0:17 offset1:34
	ds_read_b32 v11, v22
	ds_read_b32 v12, v23 offset:204
	s_waitcnt vmcnt(0) lgkmcnt(0)
	s_barrier
	v_lshrrev_b32_e32 v13, 16, v9
	v_lshrrev_b32_e32 v14, 16, v10
	v_lshrrev_b32_e32 v15, 16, v12
	v_lshrrev_b32_e32 v16, 16, v11
	v_mul_f16_sdwa v17, v6, v13 dst_sel:DWORD dst_unused:UNUSED_PAD src0_sel:WORD_1 src1_sel:DWORD
	v_mul_f16_sdwa v18, v6, v9 dst_sel:DWORD dst_unused:UNUSED_PAD src0_sel:WORD_1 src1_sel:DWORD
	;; [unrolled: 1-line block ×6, first 2 shown]
	v_fma_f16 v9, v6, v9, v17
	v_fma_f16 v6, v6, v13, -v18
	v_fma_f16 v10, v7, v10, v19
	v_fma_f16 v7, v7, v14, -v20
	;; [unrolled: 2-line block ×3, first 2 shown]
	v_sub_f16_e32 v7, v16, v7
	v_sub_f16_e32 v8, v6, v8
	;; [unrolled: 1-line block ×4, first 2 shown]
	v_fma_f16 v13, v16, 2.0, -v7
	v_fma_f16 v6, v6, 2.0, -v8
	;; [unrolled: 1-line block ×4, first 2 shown]
	v_add_f16_e32 v8, v10, v8
	v_sub_f16_e32 v12, v7, v12
	v_sub_f16_e32 v6, v13, v6
	;; [unrolled: 1-line block ×3, first 2 shown]
	v_fma_f16 v10, v10, 2.0, -v8
	v_fma_f16 v7, v7, 2.0, -v12
	v_pack_b32_f16 v8, v8, v12
	v_fma_f16 v12, v13, 2.0, -v6
	v_fma_f16 v11, v11, 2.0, -v9
	v_pack_b32_f16 v6, v9, v6
	v_lshlrev_b32_e32 v9, 16, v12
	v_pack_b32_f16 v7, v10, v7
	ds_write2_b32 v23, v6, v8 offset0:34 offset1:51
	v_or_b32_sdwa v6, v9, v11 dst_sel:DWORD dst_unused:UNUSED_PAD src0_sel:DWORD src1_sel:WORD_0
	ds_write2_b32 v23, v6, v7 offset1:17
	s_waitcnt lgkmcnt(0)
	s_barrier
	s_and_saveexec_b64 s[0:1], vcc
	s_cbranch_execz .LBB0_22
; %bb.21:
	v_mul_lo_u32 v6, s3, v3
	v_mul_lo_u32 v7, s2, v4
	v_mad_u64_u32 v[3:4], s[0:1], s2, v3, 0
	v_lshl_add_u32 v9, v5, 2, v0
	v_mov_b32_e32 v0, s11
	v_add3_u32 v4, v4, v7, v6
	v_lshlrev_b64 v[3:4], 2, v[3:4]
	v_mov_b32_e32 v6, 0
	v_add_co_u32_e32 v3, vcc, s10, v3
	v_addc_co_u32_e32 v4, vcc, v0, v4, vcc
	v_lshlrev_b64 v[0:1], 2, v[1:2]
	ds_read2_b32 v[7:8], v9 offset1:17
	v_add_co_u32_e32 v10, vcc, v3, v0
	v_addc_co_u32_e32 v4, vcc, v4, v1, vcc
	v_lshlrev_b64 v[0:1], 2, v[5:6]
	ds_read2_b32 v[2:3], v9 offset0:34 offset1:51
	v_add_co_u32_e32 v0, vcc, v10, v0
	v_addc_co_u32_e32 v1, vcc, v4, v1, vcc
	s_waitcnt lgkmcnt(1)
	global_store_dword v[0:1], v7, off
	v_add_u32_e32 v0, 17, v5
	v_mov_b32_e32 v1, v6
	v_lshlrev_b64 v[0:1], 2, v[0:1]
	v_add_co_u32_e32 v0, vcc, v10, v0
	v_addc_co_u32_e32 v1, vcc, v4, v1, vcc
	global_store_dword v[0:1], v8, off
	v_add_u32_e32 v0, 34, v5
	v_mov_b32_e32 v1, v6
	v_lshlrev_b64 v[0:1], 2, v[0:1]
	v_add_u32_e32 v5, 51, v5
	v_add_co_u32_e32 v0, vcc, v10, v0
	v_addc_co_u32_e32 v1, vcc, v4, v1, vcc
	s_waitcnt lgkmcnt(0)
	global_store_dword v[0:1], v2, off
	v_lshlrev_b64 v[0:1], 2, v[5:6]
	v_add_co_u32_e32 v0, vcc, v10, v0
	v_addc_co_u32_e32 v1, vcc, v4, v1, vcc
	global_store_dword v[0:1], v3, off
.LBB0_22:
	s_endpgm
	.section	.rodata,"a",@progbits
	.p2align	6, 0x0
	.amdhsa_kernel fft_rtc_back_len68_factors_17_4_wgs_255_tpt_17_halfLds_half_op_CI_CI_unitstride_sbrr_C2R_dirReg
		.amdhsa_group_segment_fixed_size 0
		.amdhsa_private_segment_fixed_size 0
		.amdhsa_kernarg_size 104
		.amdhsa_user_sgpr_count 6
		.amdhsa_user_sgpr_private_segment_buffer 1
		.amdhsa_user_sgpr_dispatch_ptr 0
		.amdhsa_user_sgpr_queue_ptr 0
		.amdhsa_user_sgpr_kernarg_segment_ptr 1
		.amdhsa_user_sgpr_dispatch_id 0
		.amdhsa_user_sgpr_flat_scratch_init 0
		.amdhsa_user_sgpr_private_segment_size 0
		.amdhsa_uses_dynamic_stack 0
		.amdhsa_system_sgpr_private_segment_wavefront_offset 0
		.amdhsa_system_sgpr_workgroup_id_x 1
		.amdhsa_system_sgpr_workgroup_id_y 0
		.amdhsa_system_sgpr_workgroup_id_z 0
		.amdhsa_system_sgpr_workgroup_info 0
		.amdhsa_system_vgpr_workitem_id 0
		.amdhsa_next_free_vgpr 147
		.amdhsa_next_free_sgpr 32
		.amdhsa_reserve_vcc 1
		.amdhsa_reserve_flat_scratch 0
		.amdhsa_float_round_mode_32 0
		.amdhsa_float_round_mode_16_64 0
		.amdhsa_float_denorm_mode_32 3
		.amdhsa_float_denorm_mode_16_64 3
		.amdhsa_dx10_clamp 1
		.amdhsa_ieee_mode 1
		.amdhsa_fp16_overflow 0
		.amdhsa_exception_fp_ieee_invalid_op 0
		.amdhsa_exception_fp_denorm_src 0
		.amdhsa_exception_fp_ieee_div_zero 0
		.amdhsa_exception_fp_ieee_overflow 0
		.amdhsa_exception_fp_ieee_underflow 0
		.amdhsa_exception_fp_ieee_inexact 0
		.amdhsa_exception_int_div_zero 0
	.end_amdhsa_kernel
	.text
.Lfunc_end0:
	.size	fft_rtc_back_len68_factors_17_4_wgs_255_tpt_17_halfLds_half_op_CI_CI_unitstride_sbrr_C2R_dirReg, .Lfunc_end0-fft_rtc_back_len68_factors_17_4_wgs_255_tpt_17_halfLds_half_op_CI_CI_unitstride_sbrr_C2R_dirReg
                                        ; -- End function
	.section	.AMDGPU.csdata,"",@progbits
; Kernel info:
; codeLenInByte = 7272
; NumSgprs: 36
; NumVgprs: 147
; ScratchSize: 0
; MemoryBound: 0
; FloatMode: 240
; IeeeMode: 1
; LDSByteSize: 0 bytes/workgroup (compile time only)
; SGPRBlocks: 4
; VGPRBlocks: 36
; NumSGPRsForWavesPerEU: 36
; NumVGPRsForWavesPerEU: 147
; Occupancy: 1
; WaveLimiterHint : 1
; COMPUTE_PGM_RSRC2:SCRATCH_EN: 0
; COMPUTE_PGM_RSRC2:USER_SGPR: 6
; COMPUTE_PGM_RSRC2:TRAP_HANDLER: 0
; COMPUTE_PGM_RSRC2:TGID_X_EN: 1
; COMPUTE_PGM_RSRC2:TGID_Y_EN: 0
; COMPUTE_PGM_RSRC2:TGID_Z_EN: 0
; COMPUTE_PGM_RSRC2:TIDIG_COMP_CNT: 0
	.type	__hip_cuid_f5cc34b427d01529,@object ; @__hip_cuid_f5cc34b427d01529
	.section	.bss,"aw",@nobits
	.globl	__hip_cuid_f5cc34b427d01529
__hip_cuid_f5cc34b427d01529:
	.byte	0                               ; 0x0
	.size	__hip_cuid_f5cc34b427d01529, 1

	.ident	"AMD clang version 19.0.0git (https://github.com/RadeonOpenCompute/llvm-project roc-6.4.0 25133 c7fe45cf4b819c5991fe208aaa96edf142730f1d)"
	.section	".note.GNU-stack","",@progbits
	.addrsig
	.addrsig_sym __hip_cuid_f5cc34b427d01529
	.amdgpu_metadata
---
amdhsa.kernels:
  - .args:
      - .actual_access:  read_only
        .address_space:  global
        .offset:         0
        .size:           8
        .value_kind:     global_buffer
      - .offset:         8
        .size:           8
        .value_kind:     by_value
      - .actual_access:  read_only
        .address_space:  global
        .offset:         16
        .size:           8
        .value_kind:     global_buffer
      - .actual_access:  read_only
        .address_space:  global
        .offset:         24
        .size:           8
        .value_kind:     global_buffer
      - .actual_access:  read_only
        .address_space:  global
        .offset:         32
        .size:           8
        .value_kind:     global_buffer
      - .offset:         40
        .size:           8
        .value_kind:     by_value
      - .actual_access:  read_only
        .address_space:  global
        .offset:         48
        .size:           8
        .value_kind:     global_buffer
      - .actual_access:  read_only
        .address_space:  global
        .offset:         56
        .size:           8
        .value_kind:     global_buffer
      - .offset:         64
        .size:           4
        .value_kind:     by_value
      - .actual_access:  read_only
        .address_space:  global
        .offset:         72
        .size:           8
        .value_kind:     global_buffer
      - .actual_access:  read_only
        .address_space:  global
        .offset:         80
        .size:           8
        .value_kind:     global_buffer
      - .actual_access:  read_only
        .address_space:  global
        .offset:         88
        .size:           8
        .value_kind:     global_buffer
      - .actual_access:  write_only
        .address_space:  global
        .offset:         96
        .size:           8
        .value_kind:     global_buffer
    .group_segment_fixed_size: 0
    .kernarg_segment_align: 8
    .kernarg_segment_size: 104
    .language:       OpenCL C
    .language_version:
      - 2
      - 0
    .max_flat_workgroup_size: 255
    .name:           fft_rtc_back_len68_factors_17_4_wgs_255_tpt_17_halfLds_half_op_CI_CI_unitstride_sbrr_C2R_dirReg
    .private_segment_fixed_size: 0
    .sgpr_count:     36
    .sgpr_spill_count: 0
    .symbol:         fft_rtc_back_len68_factors_17_4_wgs_255_tpt_17_halfLds_half_op_CI_CI_unitstride_sbrr_C2R_dirReg.kd
    .uniform_work_group_size: 1
    .uses_dynamic_stack: false
    .vgpr_count:     147
    .vgpr_spill_count: 0
    .wavefront_size: 64
amdhsa.target:   amdgcn-amd-amdhsa--gfx906
amdhsa.version:
  - 1
  - 2
...

	.end_amdgpu_metadata
